;; amdgpu-corpus repo=ROCm/rocFFT kind=compiled arch=gfx906 opt=O3
	.text
	.amdgcn_target "amdgcn-amd-amdhsa--gfx906"
	.amdhsa_code_object_version 6
	.protected	bluestein_single_fwd_len972_dim1_half_op_CI_CI ; -- Begin function bluestein_single_fwd_len972_dim1_half_op_CI_CI
	.globl	bluestein_single_fwd_len972_dim1_half_op_CI_CI
	.p2align	8
	.type	bluestein_single_fwd_len972_dim1_half_op_CI_CI,@function
bluestein_single_fwd_len972_dim1_half_op_CI_CI: ; @bluestein_single_fwd_len972_dim1_half_op_CI_CI
; %bb.0:
	s_load_dwordx4 s[16:19], s[4:5], 0x28
	v_mul_u32_u24_e32 v1, 0x195, v0
	v_add_u32_sdwa v8, s6, v1 dst_sel:DWORD dst_unused:UNUSED_PAD src0_sel:DWORD src1_sel:WORD_1
	v_mov_b32_e32 v9, 0
	s_waitcnt lgkmcnt(0)
	v_cmp_gt_u64_e32 vcc, s[16:17], v[8:9]
	s_and_saveexec_b64 s[0:1], vcc
	s_cbranch_execz .LBB0_2
; %bb.1:
	s_load_dwordx4 s[8:11], s[4:5], 0x18
	s_load_dwordx4 s[0:3], s[4:5], 0x0
	s_movk_i32 s16, 0xa2
	v_mul_lo_u16_sdwa v1, v1, s16 dst_sel:DWORD dst_unused:UNUSED_PAD src0_sel:WORD_1 src1_sel:DWORD
	v_sub_u16_e32 v24, v0, v1
	s_waitcnt lgkmcnt(0)
	s_load_dwordx4 s[12:15], s[8:9], 0x0
	v_lshlrev_b32_e32 v27, 2, v24
	global_load_dword v25, v27, s[0:1]
	v_mov_b32_e32 v18, 0xfffff868
	v_add_u32_e32 v26, 0x400, v27
	s_waitcnt lgkmcnt(0)
	v_mad_u64_u32 v[0:1], s[6:7], s14, v8, 0
	v_mad_u64_u32 v[2:3], s[6:7], s12, v24, 0
	s_mul_i32 s8, s13, 0x510
	s_mul_hi_u32 s9, s12, 0x510
	v_mad_u64_u32 v[4:5], s[6:7], s15, v8, v[1:2]
	s_mul_i32 s15, s12, 0x510
	v_add_u32_e32 v23, 0xa00, v27
	v_mad_u64_u32 v[5:6], s[6:7], s13, v24, v[3:4]
	v_mov_b32_e32 v1, v4
	v_lshlrev_b64 v[0:1], 2, v[0:1]
	v_mov_b32_e32 v3, v5
	v_mov_b32_e32 v4, s19
	v_add_co_u32_e32 v5, vcc, s18, v0
	v_addc_co_u32_e32 v4, vcc, v4, v1, vcc
	v_lshlrev_b64 v[0:1], 2, v[2:3]
	s_add_u32 s6, s0, 0xf30
	v_add_co_u32_e32 v0, vcc, v5, v0
	s_addc_u32 s7, s1, 0
	v_addc_co_u32_e32 v1, vcc, v4, v1, vcc
	s_add_i32 s14, s9, s8
	global_load_dword v4, v[0:1], off
	v_mov_b32_e32 v2, s14
	v_add_co_u32_e32 v0, vcc, s15, v0
	v_addc_co_u32_e32 v1, vcc, v1, v2, vcc
	global_load_dword v22, v27, s[0:1] offset:1296
	global_load_dword v5, v[0:1], off
	v_add_co_u32_e32 v0, vcc, s15, v0
	v_addc_co_u32_e32 v1, vcc, v1, v2, vcc
	v_mad_u64_u32 v[2:3], s[8:9], s12, v18, v[0:1]
	s_mul_i32 s8, s13, 0xfffff868
	global_load_dword v6, v[0:1], off
	global_load_dword v21, v27, s[0:1] offset:2592
	s_sub_i32 s8, s8, s12
	v_add_u32_e32 v3, s8, v3
	v_mov_b32_e32 v1, s14
	v_add_co_u32_e32 v0, vcc, s15, v2
	v_addc_co_u32_e32 v1, vcc, v3, v1, vcc
	global_load_dword v7, v[2:3], off
	global_load_dword v17, v27, s[0:1] offset:3240
	global_load_dword v19, v27, s[0:1] offset:1944
	;; [unrolled: 1-line block ×3, first 2 shown]
	v_mov_b32_e32 v2, s14
	global_load_dword v3, v[0:1], off
	v_add_co_u32_e32 v0, vcc, s15, v0
	v_addc_co_u32_e32 v1, vcc, v1, v2, vcc
	global_load_dword v0, v[0:1], off
	s_load_dwordx4 s[8:11], s[10:11], 0x0
	s_movk_i32 s12, 0x3aee
	s_mov_b32 s14, 0xffff
	v_add_co_u32_e32 v13, vcc, s16, v24
	s_movk_i32 s13, 0xab
	s_mov_b32 s15, 0xe38f
	s_waitcnt vmcnt(10)
	v_lshrrev_b32_e32 v1, 16, v4
	v_mul_f16_sdwa v2, v25, v4 dst_sel:DWORD dst_unused:UNUSED_PAD src0_sel:WORD_1 src1_sel:DWORD
	v_mul_f16_sdwa v9, v25, v1 dst_sel:DWORD dst_unused:UNUSED_PAD src0_sel:WORD_1 src1_sel:DWORD
	v_fma_f16 v1, v25, v1, -v2
	v_fma_f16 v4, v25, v4, v9
	v_pack_b32_f16 v1, v4, v1
	s_waitcnt vmcnt(8)
	v_lshrrev_b32_e32 v2, 16, v5
	v_mul_f16_sdwa v10, v22, v5 dst_sel:DWORD dst_unused:UNUSED_PAD src0_sel:WORD_1 src1_sel:DWORD
	v_fma_f16 v9, v22, v2, -v10
	v_mul_f16_sdwa v2, v22, v2 dst_sel:DWORD dst_unused:UNUSED_PAD src0_sel:WORD_1 src1_sel:DWORD
	v_fma_f16 v2, v22, v5, v2
	v_pack_b32_f16 v2, v2, v9
	ds_write_b32 v27, v2 offset:1296
	s_waitcnt vmcnt(7)
	v_lshrrev_b32_e32 v10, 16, v6
	s_waitcnt vmcnt(6)
	v_mul_f16_sdwa v11, v21, v6 dst_sel:DWORD dst_unused:UNUSED_PAD src0_sel:WORD_1 src1_sel:DWORD
	v_mul_f16_sdwa v5, v21, v10 dst_sel:DWORD dst_unused:UNUSED_PAD src0_sel:WORD_1 src1_sel:DWORD
	v_fma_f16 v4, v21, v10, -v11
	v_fma_f16 v5, v21, v6, v5
	v_pack_b32_f16 v2, v5, v4
	ds_write_b32 v27, v2 offset:2592
	s_waitcnt vmcnt(5)
	v_lshrrev_b32_e32 v2, 16, v7
	s_waitcnt vmcnt(2)
	v_mul_f16_sdwa v4, v20, v7 dst_sel:DWORD dst_unused:UNUSED_PAD src0_sel:WORD_1 src1_sel:DWORD
	v_mul_f16_sdwa v5, v20, v2 dst_sel:DWORD dst_unused:UNUSED_PAD src0_sel:WORD_1 src1_sel:DWORD
	v_fma_f16 v2, v20, v2, -v4
	s_waitcnt vmcnt(1)
	v_lshrrev_b32_e32 v4, 16, v3
	v_mul_f16_sdwa v6, v19, v3 dst_sel:DWORD dst_unused:UNUSED_PAD src0_sel:WORD_1 src1_sel:DWORD
	v_fma_f16 v5, v20, v7, v5
	v_mul_f16_sdwa v7, v19, v4 dst_sel:DWORD dst_unused:UNUSED_PAD src0_sel:WORD_1 src1_sel:DWORD
	v_fma_f16 v4, v19, v4, -v6
	s_waitcnt vmcnt(0)
	v_lshrrev_b32_e32 v6, 16, v0
	v_mul_f16_sdwa v9, v17, v0 dst_sel:DWORD dst_unused:UNUSED_PAD src0_sel:WORD_1 src1_sel:DWORD
	v_pack_b32_f16 v2, v5, v2
	v_mul_f16_sdwa v5, v17, v6 dst_sel:DWORD dst_unused:UNUSED_PAD src0_sel:WORD_1 src1_sel:DWORD
	v_fma_f16 v3, v19, v3, v7
	v_fma_f16 v6, v17, v6, -v9
	v_fma_f16 v0, v17, v0, v5
	ds_write2_b32 v27, v1, v2 offset1:162
	v_pack_b32_f16 v1, v3, v4
	v_pack_b32_f16 v0, v0, v6
	ds_write_b32 v27, v1 offset:1944
	ds_write_b32 v27, v0 offset:3240
	s_waitcnt lgkmcnt(0)
	s_barrier
	ds_read2_b32 v[0:1], v27 offset1:162
	ds_read2_b32 v[2:3], v26 offset0:68 offset1:230
	ds_read2_b32 v[4:5], v23 offset0:8 offset1:170
	s_waitcnt lgkmcnt(0)
	s_barrier
	v_pk_add_f16 v7, v0, v2
	v_pk_add_f16 v9, v2, v4
	v_pk_add_f16 v2, v2, v4 neg_lo:[0,1] neg_hi:[0,1]
	v_pk_add_f16 v6, v1, v3
	v_pk_fma_f16 v0, v9, 0.5, v0 op_sel_hi:[1,0,1] neg_lo:[1,0,0] neg_hi:[1,0,0]
	v_pk_mul_f16 v2, v2, s12 op_sel_hi:[1,0]
	v_pk_add_f16 v10, v3, v5
	v_pk_add_f16 v3, v3, v5 neg_lo:[0,1] neg_hi:[0,1]
	v_pk_add_f16 v5, v6, v5
	v_pk_add_f16 v6, v0, v2 op_sel:[0,1] op_sel_hi:[1,0]
	v_pk_add_f16 v0, v0, v2 op_sel:[0,1] op_sel_hi:[1,0] neg_lo:[0,1] neg_hi:[0,1]
	v_mul_lo_u16_e32 v2, 3, v24
	v_pk_add_f16 v4, v7, v4
	v_lshlrev_b32_e32 v29, 2, v2
	v_bfi_b32 v2, s14, v6, v0
	v_bfi_b32 v0, s14, v0, v6
	ds_write2_b32 v29, v4, v2 offset1:1
	v_pk_fma_f16 v1, v10, 0.5, v1 op_sel_hi:[1,0,1] neg_lo:[1,0,0] neg_hi:[1,0,0]
	v_mul_u32_u24_e32 v2, 3, v13
	ds_write_b32 v29, v0 offset:8
	v_pk_mul_f16 v0, v3, s12 op_sel_hi:[1,0]
	v_lshlrev_b32_e32 v30, 2, v2
	v_pk_add_f16 v2, v1, v0 op_sel:[0,1] op_sel_hi:[1,0]
	v_pk_add_f16 v0, v1, v0 op_sel:[0,1] op_sel_hi:[1,0] neg_lo:[0,1] neg_hi:[0,1]
	v_bfi_b32 v1, s14, v2, v0
	v_bfi_b32 v0, s14, v0, v2
	ds_write_b32 v30, v0 offset:8
	v_mul_lo_u16_sdwa v0, v24, s13 dst_sel:DWORD dst_unused:UNUSED_PAD src0_sel:BYTE_0 src1_sel:DWORD
	v_lshrrev_b16_e32 v11, 9, v0
	v_mul_lo_u16_e32 v0, 3, v11
	v_sub_u16_e32 v0, v24, v0
	v_and_b32_e32 v12, 0xff, v0
	ds_write2_b32 v30, v5, v1 offset1:1
	v_mad_u64_u32 v[4:5], s[16:17], v12, 20, s[2:3]
	s_waitcnt lgkmcnt(0)
	s_barrier
	global_load_dwordx4 v[0:3], v[4:5], off
	global_load_dword v28, v[4:5], off offset:16
	ds_read2_b32 v[4:5], v26 offset0:68 offset1:230
	ds_read2_b32 v[6:7], v23 offset0:8 offset1:170
	ds_read2_b32 v[9:10], v27 offset1:162
	s_mov_b32 s13, 0xbaee
	v_mul_u32_u24_e32 v11, 18, v11
	s_waitcnt lgkmcnt(2)
	v_lshrrev_b32_e32 v14, 16, v4
	s_waitcnt lgkmcnt(1)
	v_lshrrev_b32_e32 v16, 16, v6
	v_lshrrev_b32_e32 v15, 16, v5
	;; [unrolled: 1-line block ×3, first 2 shown]
	s_waitcnt lgkmcnt(0)
	v_lshrrev_b32_e32 v32, 16, v10
	v_lshrrev_b32_e32 v33, 16, v9
	s_waitcnt vmcnt(0)
	s_barrier
	v_mul_f16_sdwa v36, v4, v1 dst_sel:DWORD dst_unused:UNUSED_PAD src0_sel:DWORD src1_sel:WORD_1
	v_mul_f16_sdwa v40, v6, v3 dst_sel:DWORD dst_unused:UNUSED_PAD src0_sel:DWORD src1_sel:WORD_1
	;; [unrolled: 1-line block ×6, first 2 shown]
	v_fma_f16 v14, v14, v1, v36
	v_fma_f16 v16, v16, v3, v40
	v_mul_f16_sdwa v35, v15, v2 dst_sel:DWORD dst_unused:UNUSED_PAD src0_sel:DWORD src1_sel:WORD_1
	v_mul_f16_sdwa v39, v31, v28 dst_sel:DWORD dst_unused:UNUSED_PAD src0_sel:DWORD src1_sel:WORD_1
	;; [unrolled: 1-line block ×4, first 2 shown]
	v_fma_f16 v4, v4, v1, -v34
	v_fma_f16 v6, v6, v3, -v38
	v_fma_f16 v15, v15, v2, v37
	v_fma_f16 v32, v32, v0, v42
	v_sub_f16_e32 v36, v14, v16
	v_add_f16_e32 v37, v33, v14
	v_add_f16_e32 v14, v14, v16
	v_fma_f16 v5, v5, v2, -v35
	v_fma_f16 v7, v7, v28, -v39
	v_fma_f16 v31, v31, v28, v41
	v_add_f16_e32 v34, v4, v6
	v_fma_f16 v14, v14, -0.5, v33
	v_add_f16_e32 v33, v32, v15
	v_fma_f16 v10, v10, v0, -v43
	v_add_f16_e32 v35, v9, v4
	v_fma_f16 v9, v34, -0.5, v9
	v_add_f16_e32 v33, v33, v31
	v_sub_f16_e32 v34, v15, v31
	v_add_f16_e32 v15, v15, v31
	v_add_f16_e32 v31, v5, v7
	v_fma_f16 v15, v15, -0.5, v32
	v_fma_f16 v32, v31, -0.5, v10
	v_add_f16_e32 v10, v10, v5
	v_sub_f16_e32 v5, v5, v7
	v_fma_f16 v31, v5, s13, v15
	v_sub_f16_e32 v4, v4, v6
	v_add_f16_e32 v6, v35, v6
	v_add_f16_e32 v10, v10, v7
	v_fma_f16 v7, v34, s12, v32
	v_mul_f16_e32 v35, 0x3aee, v31
	v_add_f16_e32 v16, v37, v16
	v_fma_f16 v35, v7, 0.5, v35
	v_mul_f16_e32 v7, 0xbaee, v7
	v_fma_f16 v7, v31, 0.5, v7
	v_add_lshl_u32 v31, v11, v12, 2
	v_add_f16_e32 v11, v6, v10
	v_add_f16_e32 v12, v16, v33
	v_pack_b32_f16 v11, v11, v12
	v_fma_f16 v12, v36, s12, v9
	v_fma_f16 v37, v4, s13, v14
	v_add_f16_e32 v38, v12, v35
	v_add_f16_e32 v39, v37, v7
	v_pack_b32_f16 v38, v38, v39
	ds_write2_b32 v31, v11, v38 offset1:3
	v_fma_f16 v11, v34, s13, v32
	v_fma_f16 v4, v4, s12, v14
	;; [unrolled: 1-line block ×3, first 2 shown]
	v_mul_f16_e32 v14, -0.5, v11
	v_fma_f16 v14, v5, s12, v14
	v_mul_f16_e32 v5, -0.5, v5
	v_fma_f16 v9, v36, s13, v9
	v_fma_f16 v5, v11, s13, v5
	v_sub_f16_e32 v6, v6, v10
	v_sub_f16_e32 v10, v16, v33
	v_add_f16_e32 v11, v9, v14
	v_add_f16_e32 v15, v4, v5
	v_pack_b32_f16 v11, v11, v15
	v_pack_b32_f16 v6, v6, v10
	ds_write2_b32 v31, v11, v6 offset0:6 offset1:9
	v_sub_f16_e32 v6, v12, v35
	v_sub_f16_e32 v9, v9, v14
	v_sub_f16_e32 v7, v37, v7
	v_sub_f16_e32 v4, v4, v5
	v_pack_b32_f16 v5, v6, v7
	v_pack_b32_f16 v4, v9, v4
	ds_write2_b32 v31, v5, v4 offset0:12 offset1:15
	v_mov_b32_e32 v4, 57
	v_mul_lo_u16_sdwa v4, v24, v4 dst_sel:DWORD dst_unused:UNUSED_PAD src0_sel:BYTE_0 src1_sel:DWORD
	v_lshrrev_b16_e32 v16, 10, v4
	v_mul_lo_u16_e32 v4, 18, v16
	v_sub_u16_e32 v4, v24, v4
	v_and_b32_e32 v32, 0xff, v4
	v_lshlrev_b32_e32 v4, 3, v32
	s_waitcnt lgkmcnt(0)
	s_barrier
	global_load_dwordx2 v[9:10], v4, s[2:3] offset:60
	v_mul_u32_u24_sdwa v4, v13, s15 dst_sel:DWORD dst_unused:UNUSED_PAD src0_sel:WORD_0 src1_sel:DWORD
	v_lshrrev_b32_e32 v33, 20, v4
	v_mul_lo_u16_e32 v4, 18, v33
	v_sub_u16_e32 v34, v13, v4
	v_lshlrev_b16_e32 v4, 3, v34
	v_mov_b32_e32 v5, s3
	v_add_co_u32_e32 v4, vcc, s2, v4
	v_addc_co_u32_e32 v5, vcc, 0, v5, vcc
	global_load_dwordx2 v[11:12], v[4:5], off offset:60
	ds_read2_b32 v[4:5], v26 offset0:68 offset1:230
	ds_read2_b32 v[6:7], v23 offset0:8 offset1:170
	ds_read2_b32 v[14:15], v27 offset1:162
	s_waitcnt vmcnt(0) lgkmcnt(0)
	s_barrier
	v_lshrrev_b32_e32 v35, 16, v4
	v_lshrrev_b32_e32 v36, 16, v6
	;; [unrolled: 1-line block ×3, first 2 shown]
	v_lshlrev_b32_e32 v13, 3, v13
	v_mul_f16_sdwa v38, v4, v9 dst_sel:DWORD dst_unused:UNUSED_PAD src0_sel:DWORD src1_sel:WORD_1
	v_fma_f16 v38, v35, v9, v38
	v_mul_f16_sdwa v35, v35, v9 dst_sel:DWORD dst_unused:UNUSED_PAD src0_sel:DWORD src1_sel:WORD_1
	v_mul_f16_sdwa v39, v6, v10 dst_sel:DWORD dst_unused:UNUSED_PAD src0_sel:DWORD src1_sel:WORD_1
	v_fma_f16 v4, v4, v9, -v35
	v_mul_f16_sdwa v35, v36, v10 dst_sel:DWORD dst_unused:UNUSED_PAD src0_sel:DWORD src1_sel:WORD_1
	v_fma_f16 v39, v36, v10, v39
	v_fma_f16 v6, v6, v10, -v35
	v_add_f16_e32 v40, v37, v38
	v_sub_f16_e32 v41, v38, v39
	v_add_f16_e32 v38, v38, v39
	v_add_f16_e32 v35, v14, v4
	;; [unrolled: 1-line block ×4, first 2 shown]
	v_fma_f16 v37, v38, -0.5, v37
	v_add_f16_e32 v35, v35, v6
	v_sub_f16_e32 v4, v4, v6
	v_mul_u32_u24_e32 v6, 54, v16
	v_fma_f16 v14, v36, -0.5, v14
	v_add_lshl_u32 v32, v6, v32, 2
	v_pack_b32_f16 v6, v35, v39
	v_fma_f16 v16, v41, s12, v14
	v_fma_f16 v35, v4, s13, v37
	v_pack_b32_f16 v16, v16, v35
	ds_write2_b32 v32, v6, v16 offset1:18
	v_lshrrev_b32_e32 v6, 16, v5
	v_mul_f16_sdwa v16, v6, v11 dst_sel:DWORD dst_unused:UNUSED_PAD src0_sel:DWORD src1_sel:WORD_1
	v_fma_f16 v16, v5, v11, -v16
	v_mul_f16_sdwa v5, v5, v11 dst_sel:DWORD dst_unused:UNUSED_PAD src0_sel:DWORD src1_sel:WORD_1
	v_fma_f16 v5, v6, v11, v5
	v_lshrrev_b32_e32 v6, 16, v7
	v_mul_f16_sdwa v35, v6, v12 dst_sel:DWORD dst_unused:UNUSED_PAD src0_sel:DWORD src1_sel:WORD_1
	v_fma_f16 v35, v7, v12, -v35
	v_mul_f16_sdwa v7, v7, v12 dst_sel:DWORD dst_unused:UNUSED_PAD src0_sel:DWORD src1_sel:WORD_1
	v_fma_f16 v6, v6, v12, v7
	v_fma_f16 v7, v41, s13, v14
	;; [unrolled: 1-line block ×3, first 2 shown]
	v_add_f16_e32 v14, v16, v35
	v_lshrrev_b32_e32 v36, 16, v15
	v_fma_f16 v14, v14, -0.5, v15
	v_add_f16_e32 v15, v15, v16
	v_add_f16_e32 v37, v36, v5
	v_sub_f16_e32 v38, v5, v6
	v_add_f16_e32 v5, v5, v6
	v_pack_b32_f16 v4, v7, v4
	v_add_f16_e32 v37, v37, v6
	v_fma_f16 v5, v5, -0.5, v36
	v_add_f16_e32 v6, v15, v35
	v_sub_f16_e32 v15, v16, v35
	ds_write_b32 v32, v4 offset:144
	v_mad_legacy_u16 v4, v33, 54, v34
	v_fma_f16 v16, v15, s13, v5
	v_lshlrev_b32_e32 v34, 2, v4
	v_fma_f16 v4, v38, s13, v14
	v_fma_f16 v5, v15, s12, v5
	v_pack_b32_f16 v4, v4, v5
	ds_write_b32 v34, v4 offset:144
	v_mov_b32_e32 v4, 19
	v_fma_f16 v7, v38, s12, v14
	v_mul_lo_u16_sdwa v4, v24, v4 dst_sel:DWORD dst_unused:UNUSED_PAD src0_sel:BYTE_0 src1_sel:DWORD
	v_pack_b32_f16 v7, v7, v16
	v_lshrrev_b16_e32 v16, 10, v4
	v_mul_lo_u16_e32 v4, 54, v16
	v_sub_u16_e32 v4, v24, v4
	v_pack_b32_f16 v6, v6, v37
	v_and_b32_e32 v37, 0xff, v4
	v_mad_u64_u32 v[14:15], s[16:17], v37, 20, s[2:3]
	ds_write2_b32 v34, v6, v7 offset1:18
	s_waitcnt lgkmcnt(0)
	s_barrier
	global_load_dwordx4 v[4:7], v[14:15], off offset:204
	global_load_dword v33, v[14:15], off offset:220
	ds_read2_b32 v[14:15], v26 offset0:68 offset1:230
	ds_read2_b32 v[35:36], v23 offset0:8 offset1:170
	v_mul_u32_u24_e32 v16, 0x144, v16
	s_waitcnt lgkmcnt(1)
	v_lshrrev_b32_e32 v38, 16, v14
	v_lshrrev_b32_e32 v39, 16, v15
	s_waitcnt lgkmcnt(0)
	v_lshrrev_b32_e32 v40, 16, v35
	s_waitcnt vmcnt(1)
	v_mul_f16_sdwa v41, v38, v5 dst_sel:DWORD dst_unused:UNUSED_PAD src0_sel:DWORD src1_sel:WORD_1
	v_mul_f16_sdwa v43, v14, v5 dst_sel:DWORD dst_unused:UNUSED_PAD src0_sel:DWORD src1_sel:WORD_1
	v_fma_f16 v41, v14, v5, -v41
	v_mul_f16_sdwa v14, v35, v7 dst_sel:DWORD dst_unused:UNUSED_PAD src0_sel:DWORD src1_sel:WORD_1
	v_mul_f16_sdwa v42, v39, v6 dst_sel:DWORD dst_unused:UNUSED_PAD src0_sel:DWORD src1_sel:WORD_1
	v_fma_f16 v38, v38, v5, v43
	v_fma_f16 v43, v40, v7, v14
	v_mul_f16_sdwa v14, v40, v7 dst_sel:DWORD dst_unused:UNUSED_PAD src0_sel:DWORD src1_sel:WORD_1
	v_mul_f16_sdwa v44, v15, v6 dst_sel:DWORD dst_unused:UNUSED_PAD src0_sel:DWORD src1_sel:WORD_1
	v_fma_f16 v42, v15, v6, -v42
	v_fma_f16 v35, v35, v7, -v14
	ds_read2_b32 v[14:15], v27 offset1:162
	v_lshrrev_b32_e32 v40, 16, v36
	v_fma_f16 v39, v39, v6, v44
	s_waitcnt vmcnt(0)
	v_mul_f16_sdwa v44, v40, v33 dst_sel:DWORD dst_unused:UNUSED_PAD src0_sel:DWORD src1_sel:WORD_1
	v_fma_f16 v44, v36, v33, -v44
	v_mul_f16_sdwa v36, v36, v33 dst_sel:DWORD dst_unused:UNUSED_PAD src0_sel:DWORD src1_sel:WORD_1
	v_fma_f16 v36, v40, v33, v36
	s_waitcnt lgkmcnt(0)
	v_lshrrev_b32_e32 v40, 16, v15
	v_mul_f16_sdwa v45, v15, v4 dst_sel:DWORD dst_unused:UNUSED_PAD src0_sel:DWORD src1_sel:WORD_1
	v_fma_f16 v45, v40, v4, v45
	v_mul_f16_sdwa v40, v40, v4 dst_sel:DWORD dst_unused:UNUSED_PAD src0_sel:DWORD src1_sel:WORD_1
	v_fma_f16 v15, v15, v4, -v40
	v_add_f16_e32 v40, v41, v35
	v_fma_f16 v40, v40, -0.5, v14
	v_lshrrev_b32_e32 v46, 16, v14
	v_add_f16_e32 v14, v14, v41
	v_add_f16_e32 v47, v46, v38
	;; [unrolled: 1-line block ×3, first 2 shown]
	v_sub_f16_e32 v41, v41, v35
	v_add_f16_e32 v35, v45, v39
	v_add_f16_e32 v47, v47, v43
	v_sub_f16_e32 v48, v38, v43
	v_add_f16_e32 v38, v38, v43
	v_add_f16_e32 v43, v35, v36
	;; [unrolled: 1-line block ×3, first 2 shown]
	v_fma_f16 v38, v38, -0.5, v46
	v_sub_f16_e32 v46, v39, v36
	v_fma_f16 v36, v35, -0.5, v45
	v_add_f16_e32 v35, v42, v44
	v_fma_f16 v39, v35, -0.5, v15
	v_add_f16_e32 v15, v15, v42
	v_sub_f16_e32 v42, v42, v44
	v_add_f16_e32 v15, v15, v44
	v_fma_f16 v44, v42, s13, v36
	v_fma_f16 v35, v46, s12, v39
	v_mul_f16_e32 v45, 0x3aee, v44
	v_fma_f16 v45, v35, 0.5, v45
	v_mul_f16_e32 v35, 0xbaee, v35
	v_fma_f16 v44, v44, 0.5, v35
	v_add_lshl_u32 v35, v16, v37, 2
	v_add_f16_e32 v16, v14, v15
	v_add_f16_e32 v37, v47, v43
	v_pack_b32_f16 v16, v16, v37
	v_fma_f16 v37, v48, s12, v40
	v_fma_f16 v49, v41, s13, v38
	v_add_f16_e32 v50, v37, v45
	v_add_f16_e32 v51, v49, v44
	v_pack_b32_f16 v50, v50, v51
	v_fma_f16 v39, v46, s13, v39
	s_barrier
	ds_write2_b32 v35, v16, v50 offset1:54
	v_fma_f16 v16, v48, s13, v40
	v_fma_f16 v36, v42, s12, v36
	v_mul_f16_e32 v40, -0.5, v39
	v_fma_f16 v40, v36, s12, v40
	v_mul_f16_e32 v36, -0.5, v36
	v_fma_f16 v38, v41, s12, v38
	v_fma_f16 v36, v39, s13, v36
	v_sub_f16_e32 v14, v14, v15
	v_sub_f16_e32 v15, v47, v43
	v_add_f16_e32 v39, v16, v40
	v_add_f16_e32 v41, v38, v36
	v_pack_b32_f16 v39, v39, v41
	v_pack_b32_f16 v14, v14, v15
	ds_write2_b32 v35, v39, v14 offset0:108 offset1:162
	v_sub_f16_e32 v14, v37, v45
	v_sub_f16_e32 v15, v16, v40
	;; [unrolled: 1-line block ×4, first 2 shown]
	v_pack_b32_f16 v14, v14, v16
	v_pack_b32_f16 v15, v15, v36
	v_add_u32_e32 v36, 0x200, v35
	ds_write2_b32 v36, v14, v15 offset0:88 offset1:142
	v_lshlrev_b32_e32 v14, 3, v24
	s_waitcnt lgkmcnt(0)
	s_barrier
	global_load_dwordx2 v[15:16], v14, s[2:3] offset:1284
	ds_read2_b32 v[37:38], v26 offset0:68 offset1:230
	global_load_dwordx2 v[13:14], v13, s[2:3] offset:1284
	s_mov_b32 s2, 0xa88f4696
	s_mov_b32 s3, 0x3f50db20
	s_waitcnt lgkmcnt(0)
	v_lshrrev_b32_e32 v39, 16, v37
	s_waitcnt vmcnt(1)
	v_mul_f16_sdwa v40, v37, v15 dst_sel:DWORD dst_unused:UNUSED_PAD src0_sel:DWORD src1_sel:WORD_1
	v_fma_f16 v41, v39, v15, v40
	v_mul_f16_sdwa v39, v39, v15 dst_sel:DWORD dst_unused:UNUSED_PAD src0_sel:DWORD src1_sel:WORD_1
	v_fma_f16 v42, v37, v15, -v39
	ds_read2_b32 v[39:40], v23 offset0:8 offset1:170
	v_lshrrev_b32_e32 v37, 16, v38
	s_waitcnt vmcnt(0)
	v_mul_f16_sdwa v43, v37, v13 dst_sel:DWORD dst_unused:UNUSED_PAD src0_sel:DWORD src1_sel:WORD_1
	v_fma_f16 v43, v38, v13, -v43
	v_mul_f16_sdwa v38, v38, v13 dst_sel:DWORD dst_unused:UNUSED_PAD src0_sel:DWORD src1_sel:WORD_1
	v_fma_f16 v44, v37, v13, v38
	s_waitcnt lgkmcnt(0)
	v_lshrrev_b32_e32 v37, 16, v39
	v_mul_f16_sdwa v38, v39, v16 dst_sel:DWORD dst_unused:UNUSED_PAD src0_sel:DWORD src1_sel:WORD_1
	v_fma_f16 v45, v37, v16, v38
	v_mul_f16_sdwa v37, v37, v16 dst_sel:DWORD dst_unused:UNUSED_PAD src0_sel:DWORD src1_sel:WORD_1
	v_fma_f16 v39, v39, v16, -v37
	ds_read2_b32 v[37:38], v27 offset1:162
	v_lshrrev_b32_e32 v46, 16, v40
	v_mul_f16_sdwa v47, v46, v14 dst_sel:DWORD dst_unused:UNUSED_PAD src0_sel:DWORD src1_sel:WORD_1
	v_fma_f16 v47, v40, v14, -v47
	v_mul_f16_sdwa v40, v40, v14 dst_sel:DWORD dst_unused:UNUSED_PAD src0_sel:DWORD src1_sel:WORD_1
	v_fma_f16 v40, v46, v14, v40
	v_add_f16_e32 v46, v42, v39
	s_waitcnt lgkmcnt(0)
	v_fma_f16 v46, v46, -0.5, v37
	v_sub_f16_e32 v48, v41, v45
	v_fma_f16 v49, v48, s12, v46
	v_fma_f16 v46, v48, s13, v46
	v_lshrrev_b32_e32 v48, 16, v37
	v_add_f16_e32 v50, v48, v41
	v_add_f16_e32 v41, v41, v45
	;; [unrolled: 1-line block ×3, first 2 shown]
	v_fma_f16 v41, v41, -0.5, v48
	v_add_f16_e32 v37, v37, v39
	v_sub_f16_e32 v39, v42, v39
	v_fma_f16 v42, v39, s13, v41
	v_fma_f16 v39, v39, s12, v41
	v_add_f16_e32 v50, v50, v45
	v_add_f16_e32 v41, v43, v47
	v_lshrrev_b32_e32 v45, 16, v38
	v_pack_b32_f16 v39, v46, v39
	v_fma_f16 v41, v41, -0.5, v38
	v_add_f16_e32 v38, v38, v43
	ds_write_b32 v27, v39 offset:2592
	v_add_f16_e32 v39, v45, v44
	v_add_f16_e32 v38, v38, v47
	;; [unrolled: 1-line block ×3, first 2 shown]
	v_pack_b32_f16 v37, v37, v50
	v_pack_b32_f16 v42, v49, v42
	;; [unrolled: 1-line block ×3, first 2 shown]
	v_add_f16_e32 v39, v44, v40
	ds_write_b32 v27, v42 offset:1296
	ds_write2_b32 v27, v37, v38 offset1:162
	v_sub_f16_e32 v37, v44, v40
	v_fma_f16 v39, v39, -0.5, v45
	v_sub_f16_e32 v40, v43, v47
	v_fma_f16 v38, v37, s12, v41
	v_fma_f16 v37, v37, s13, v41
	v_fma_f16 v41, v40, s13, v39
	v_fma_f16 v39, v40, s12, v39
	v_pack_b32_f16 v38, v38, v41
	v_pack_b32_f16 v37, v37, v39
	ds_write_b32 v27, v38 offset:1944
	ds_write_b32 v27, v37 offset:3240
	s_waitcnt lgkmcnt(0)
	s_barrier
	global_load_dword v39, v27, s[0:1] offset:3888
	global_load_dword v41, v27, s[6:7] offset:648
	;; [unrolled: 1-line block ×6, first 2 shown]
	ds_read2_b32 v[37:38], v27 offset1:162
	v_add_u32_e32 v46, 0x200, v27
	s_movk_i32 s7, 0x1ff
	s_movk_i32 s6, 0xffe
	s_waitcnt lgkmcnt(0)
	v_lshrrev_b32_e32 v40, 16, v37
	v_lshrrev_b32_e32 v47, 16, v38
	s_waitcnt vmcnt(5)
	v_mul_f16_sdwa v48, v37, v39 dst_sel:DWORD dst_unused:UNUSED_PAD src0_sel:DWORD src1_sel:WORD_1
	v_mul_f16_sdwa v49, v40, v39 dst_sel:DWORD dst_unused:UNUSED_PAD src0_sel:DWORD src1_sel:WORD_1
	v_fma_f16 v40, v40, v39, v48
	v_fma_f16 v37, v37, v39, -v49
	v_pack_b32_f16 v37, v37, v40
	ds_write_b32 v27, v37
	ds_read2_b32 v[39:40], v26 offset0:68 offset1:230
	s_waitcnt vmcnt(4)
	v_mul_f16_sdwa v50, v47, v41 dst_sel:DWORD dst_unused:UNUSED_PAD src0_sel:DWORD src1_sel:WORD_1
	v_mul_f16_sdwa v51, v38, v41 dst_sel:DWORD dst_unused:UNUSED_PAD src0_sel:DWORD src1_sel:WORD_1
	v_fma_f16 v37, v38, v41, -v50
	v_fma_f16 v38, v47, v41, v51
	v_pack_b32_f16 v41, v37, v38
	ds_read2_b32 v[37:38], v23 offset0:8 offset1:170
	s_waitcnt lgkmcnt(1)
	v_lshrrev_b32_e32 v47, 16, v39
	s_waitcnt vmcnt(3)
	v_mul_f16_sdwa v48, v39, v42 dst_sel:DWORD dst_unused:UNUSED_PAD src0_sel:DWORD src1_sel:WORD_1
	v_fma_f16 v48, v47, v42, v48
	v_mul_f16_sdwa v47, v47, v42 dst_sel:DWORD dst_unused:UNUSED_PAD src0_sel:DWORD src1_sel:WORD_1
	v_fma_f16 v39, v39, v42, -v47
	v_pack_b32_f16 v39, v39, v48
	v_lshrrev_b32_e32 v49, 16, v40
	ds_write2_b32 v46, v41, v39 offset0:34 offset1:196
	s_waitcnt lgkmcnt(1)
	v_lshrrev_b32_e32 v41, 16, v37
	s_waitcnt vmcnt(1)
	v_mul_f16_sdwa v42, v37, v44 dst_sel:DWORD dst_unused:UNUSED_PAD src0_sel:DWORD src1_sel:WORD_1
	v_mul_f16_sdwa v50, v40, v43 dst_sel:DWORD dst_unused:UNUSED_PAD src0_sel:DWORD src1_sel:WORD_1
	;; [unrolled: 1-line block ×3, first 2 shown]
	v_fma_f16 v42, v41, v44, v42
	v_mul_f16_sdwa v41, v41, v44 dst_sel:DWORD dst_unused:UNUSED_PAD src0_sel:DWORD src1_sel:WORD_1
	v_fma_f16 v40, v40, v43, -v51
	v_fma_f16 v39, v49, v43, v50
	v_fma_f16 v37, v37, v44, -v41
	v_pack_b32_f16 v37, v37, v42
	v_pack_b32_f16 v39, v40, v39
	v_add_u32_e32 v40, 0x700, v27
	ds_write2_b32 v40, v39, v37 offset0:38 offset1:200
	v_lshrrev_b32_e32 v37, 16, v38
	s_waitcnt vmcnt(0)
	v_mul_f16_sdwa v39, v37, v45 dst_sel:DWORD dst_unused:UNUSED_PAD src0_sel:DWORD src1_sel:WORD_1
	v_fma_f16 v39, v38, v45, -v39
	v_mul_f16_sdwa v38, v38, v45 dst_sel:DWORD dst_unused:UNUSED_PAD src0_sel:DWORD src1_sel:WORD_1
	v_fma_f16 v37, v37, v45, v38
	v_pack_b32_f16 v37, v39, v37
	ds_write_b32 v27, v37 offset:3240
	s_waitcnt lgkmcnt(0)
	s_barrier
	ds_read2_b32 v[37:38], v27 offset1:162
	ds_read2_b32 v[39:40], v26 offset0:68 offset1:230
	ds_read2_b32 v[41:42], v23 offset0:8 offset1:170
	s_waitcnt lgkmcnt(0)
	s_barrier
	v_pk_add_f16 v44, v37, v39
	v_pk_add_f16 v45, v39, v41
	v_pk_add_f16 v39, v39, v41 neg_lo:[0,1] neg_hi:[0,1]
	v_pk_add_f16 v43, v38, v40
	v_pk_fma_f16 v37, v45, 0.5, v37 op_sel_hi:[1,0,1] neg_lo:[1,0,0] neg_hi:[1,0,0]
	v_pk_mul_f16 v39, v39, s12 op_sel_hi:[1,0]
	v_pk_add_f16 v46, v40, v42
	v_pk_add_f16 v40, v40, v42 neg_lo:[0,1] neg_hi:[0,1]
	v_pk_add_f16 v42, v43, v42
	v_pk_add_f16 v43, v37, v39 op_sel:[0,1] op_sel_hi:[1,0] neg_lo:[0,1] neg_hi:[0,1]
	v_pk_add_f16 v37, v37, v39 op_sel:[0,1] op_sel_hi:[1,0]
	v_pk_add_f16 v41, v44, v41
	v_bfi_b32 v39, s14, v43, v37
	v_bfi_b32 v37, s14, v37, v43
	ds_write2_b32 v29, v41, v39 offset1:1
	ds_write_b32 v29, v37 offset:8
	v_pk_fma_f16 v29, v46, 0.5, v38 op_sel_hi:[1,0,1] neg_lo:[1,0,0] neg_hi:[1,0,0]
	v_pk_mul_f16 v37, v40, s12 op_sel_hi:[1,0]
	v_pk_add_f16 v38, v29, v37 op_sel:[0,1] op_sel_hi:[1,0] neg_lo:[0,1] neg_hi:[0,1]
	v_pk_add_f16 v29, v29, v37 op_sel:[0,1] op_sel_hi:[1,0]
	v_bfi_b32 v37, s14, v38, v29
	v_bfi_b32 v29, s14, v29, v38
	ds_write2_b32 v30, v42, v37 offset1:1
	ds_write_b32 v30, v29 offset:8
	s_waitcnt lgkmcnt(0)
	s_barrier
	ds_read2_b32 v[29:30], v26 offset0:68 offset1:230
	s_waitcnt lgkmcnt(0)
	v_lshrrev_b32_e32 v37, 16, v29
	v_mul_f16_sdwa v38, v1, v29 dst_sel:DWORD dst_unused:UNUSED_PAD src0_sel:WORD_1 src1_sel:DWORD
	v_fma_f16 v39, v1, v37, -v38
	v_mul_f16_sdwa v37, v1, v37 dst_sel:DWORD dst_unused:UNUSED_PAD src0_sel:WORD_1 src1_sel:DWORD
	v_fma_f16 v29, v1, v29, v37
	v_lshrrev_b32_e32 v1, 16, v30
	ds_read2_b32 v[37:38], v27 offset1:162
	v_mul_f16_sdwa v40, v2, v1 dst_sel:DWORD dst_unused:UNUSED_PAD src0_sel:WORD_1 src1_sel:DWORD
	v_fma_f16 v40, v2, v30, v40
	v_mul_f16_sdwa v30, v2, v30 dst_sel:DWORD dst_unused:UNUSED_PAD src0_sel:WORD_1 src1_sel:DWORD
	v_fma_f16 v30, v2, v1, -v30
	ds_read2_b32 v[1:2], v23 offset0:8 offset1:170
	s_waitcnt lgkmcnt(1)
	v_lshrrev_b32_e32 v41, 16, v38
	v_mul_f16_sdwa v42, v0, v38 dst_sel:DWORD dst_unused:UNUSED_PAD src0_sel:WORD_1 src1_sel:DWORD
	v_fma_f16 v42, v0, v41, -v42
	v_mul_f16_sdwa v41, v0, v41 dst_sel:DWORD dst_unused:UNUSED_PAD src0_sel:WORD_1 src1_sel:DWORD
	v_fma_f16 v0, v0, v38, v41
	s_waitcnt lgkmcnt(0)
	v_lshrrev_b32_e32 v38, 16, v1
	v_mul_f16_sdwa v41, v3, v1 dst_sel:DWORD dst_unused:UNUSED_PAD src0_sel:WORD_1 src1_sel:DWORD
	v_fma_f16 v41, v3, v38, -v41
	v_mul_f16_sdwa v38, v3, v38 dst_sel:DWORD dst_unused:UNUSED_PAD src0_sel:WORD_1 src1_sel:DWORD
	v_fma_f16 v1, v3, v1, v38
	v_lshrrev_b32_e32 v3, 16, v2
	v_mul_f16_sdwa v38, v28, v3 dst_sel:DWORD dst_unused:UNUSED_PAD src0_sel:WORD_1 src1_sel:DWORD
	v_fma_f16 v38, v28, v2, v38
	v_mul_f16_sdwa v2, v28, v2 dst_sel:DWORD dst_unused:UNUSED_PAD src0_sel:WORD_1 src1_sel:DWORD
	v_fma_f16 v2, v28, v3, -v2
	v_add_f16_e32 v3, v29, v1
	v_fma_f16 v3, v3, -0.5, v37
	v_lshrrev_b32_e32 v28, 16, v37
	v_add_f16_e32 v37, v37, v29
	v_add_f16_e32 v43, v28, v39
	v_sub_f16_e32 v44, v39, v41
	v_add_f16_e32 v39, v39, v41
	v_add_f16_e32 v37, v37, v1
	v_sub_f16_e32 v1, v29, v1
	v_add_f16_e32 v29, v42, v30
	v_fma_f16 v28, v39, -0.5, v28
	v_add_f16_e32 v29, v29, v2
	v_sub_f16_e32 v39, v30, v2
	v_add_f16_e32 v2, v30, v2
	v_add_f16_e32 v30, v40, v38
	v_fma_f16 v30, v30, -0.5, v0
	v_add_f16_e32 v0, v0, v40
	v_fma_f16 v2, v2, -0.5, v42
	v_add_f16_e32 v0, v0, v38
	v_sub_f16_e32 v38, v40, v38
	v_add_f16_e32 v43, v43, v41
	v_fma_f16 v41, v38, s12, v2
	v_fma_f16 v40, v39, s13, v30
	v_mul_f16_e32 v42, 0xbaee, v41
	v_mul_f16_e32 v41, 0.5, v41
	v_fma_f16 v2, v38, s13, v2
	v_fma_f16 v42, v40, 0.5, v42
	v_fma_f16 v40, v40, s12, v41
	v_add_f16_e32 v41, v37, v0
	v_add_f16_e32 v45, v43, v29
	v_fma_f16 v46, v1, s12, v28
	v_fma_f16 v1, v1, s13, v28
	;; [unrolled: 1-line block ×3, first 2 shown]
	v_mul_f16_e32 v30, 0xbaee, v2
	v_mul_f16_e32 v2, -0.5, v2
	v_pack_b32_f16 v41, v41, v45
	v_fma_f16 v45, v44, s13, v3
	v_fma_f16 v3, v44, s12, v3
	v_fma_f16 v30, v28, -0.5, v30
	v_fma_f16 v2, v28, s12, v2
	v_sub_f16_e32 v0, v37, v0
	v_sub_f16_e32 v28, v43, v29
	v_add_f16_e32 v29, v3, v30
	v_add_f16_e32 v37, v1, v2
	v_pack_b32_f16 v29, v29, v37
	v_pack_b32_f16 v0, v0, v28
	v_add_f16_e32 v47, v45, v42
	v_add_f16_e32 v48, v46, v40
	s_barrier
	ds_write2_b32 v31, v29, v0 offset0:6 offset1:9
	v_sub_f16_e32 v0, v45, v42
	v_sub_f16_e32 v3, v3, v30
	;; [unrolled: 1-line block ×4, first 2 shown]
	v_pack_b32_f16 v47, v47, v48
	v_pack_b32_f16 v0, v0, v28
	;; [unrolled: 1-line block ×3, first 2 shown]
	ds_write2_b32 v31, v41, v47 offset1:3
	ds_write2_b32 v31, v0, v1 offset0:12 offset1:15
	s_waitcnt lgkmcnt(0)
	s_barrier
	ds_read2_b32 v[0:1], v26 offset0:68 offset1:230
	ds_read2_b32 v[2:3], v23 offset0:8 offset1:170
	s_waitcnt lgkmcnt(1)
	v_lshrrev_b32_e32 v28, 16, v0
	v_mul_f16_sdwa v29, v9, v0 dst_sel:DWORD dst_unused:UNUSED_PAD src0_sel:WORD_1 src1_sel:DWORD
	v_fma_f16 v29, v9, v28, -v29
	v_mul_f16_sdwa v28, v9, v28 dst_sel:DWORD dst_unused:UNUSED_PAD src0_sel:WORD_1 src1_sel:DWORD
	v_fma_f16 v9, v9, v0, v28
	s_waitcnt lgkmcnt(0)
	v_lshrrev_b32_e32 v0, 16, v2
	v_mul_f16_sdwa v28, v10, v2 dst_sel:DWORD dst_unused:UNUSED_PAD src0_sel:WORD_1 src1_sel:DWORD
	v_fma_f16 v28, v10, v0, -v28
	v_mul_f16_sdwa v0, v10, v0 dst_sel:DWORD dst_unused:UNUSED_PAD src0_sel:WORD_1 src1_sel:DWORD
	v_fma_f16 v2, v10, v2, v0
	v_lshrrev_b32_e32 v0, 16, v1
	v_mul_f16_sdwa v10, v11, v0 dst_sel:DWORD dst_unused:UNUSED_PAD src0_sel:WORD_1 src1_sel:DWORD
	v_fma_f16 v10, v11, v1, v10
	v_mul_f16_sdwa v1, v11, v1 dst_sel:DWORD dst_unused:UNUSED_PAD src0_sel:WORD_1 src1_sel:DWORD
	v_fma_f16 v11, v11, v0, -v1
	ds_read2_b32 v[0:1], v27 offset1:162
	v_lshrrev_b32_e32 v30, 16, v3
	v_mul_f16_sdwa v31, v12, v30 dst_sel:DWORD dst_unused:UNUSED_PAD src0_sel:WORD_1 src1_sel:DWORD
	v_fma_f16 v31, v12, v3, v31
	v_mul_f16_sdwa v3, v12, v3 dst_sel:DWORD dst_unused:UNUSED_PAD src0_sel:WORD_1 src1_sel:DWORD
	v_fma_f16 v3, v12, v30, -v3
	s_waitcnt lgkmcnt(0)
	v_lshrrev_b32_e32 v12, 16, v0
	v_add_f16_e32 v30, v12, v29
	v_add_f16_e32 v30, v30, v28
	v_sub_f16_e32 v37, v29, v28
	v_add_f16_e32 v28, v29, v28
	v_fma_f16 v12, v28, -0.5, v12
	v_add_f16_e32 v28, v0, v9
	v_add_f16_e32 v29, v9, v2
	v_add_f16_e32 v28, v28, v2
	v_sub_f16_e32 v2, v9, v2
	v_fma_f16 v0, v29, -0.5, v0
	v_pack_b32_f16 v9, v28, v30
	v_fma_f16 v28, v37, s13, v0
	v_fma_f16 v29, v2, s12, v12
	;; [unrolled: 1-line block ×4, first 2 shown]
	v_pack_b32_f16 v28, v28, v29
	v_pack_b32_f16 v0, v0, v2
	v_lshrrev_b32_e32 v2, 16, v1
	s_barrier
	ds_write2_b32 v32, v9, v28 offset1:18
	ds_write_b32 v32, v0 offset:144
	v_add_f16_e32 v0, v10, v31
	v_add_f16_e32 v9, v2, v11
	v_fma_f16 v0, v0, -0.5, v1
	v_add_f16_e32 v1, v1, v10
	v_add_f16_e32 v9, v9, v3
	v_sub_f16_e32 v12, v11, v3
	v_add_f16_e32 v3, v11, v3
	v_fma_f16 v2, v3, -0.5, v2
	v_add_f16_e32 v1, v1, v31
	v_sub_f16_e32 v3, v10, v31
	v_pack_b32_f16 v1, v1, v9
	v_fma_f16 v9, v12, s13, v0
	v_fma_f16 v10, v3, s12, v2
	v_pack_b32_f16 v9, v9, v10
	ds_write2_b32 v34, v1, v9 offset1:18
	v_fma_f16 v0, v12, s12, v0
	v_fma_f16 v1, v3, s13, v2
	v_pack_b32_f16 v0, v0, v1
	ds_write_b32 v34, v0 offset:144
	s_waitcnt lgkmcnt(0)
	s_barrier
	ds_read2_b32 v[0:1], v26 offset0:68 offset1:230
	s_waitcnt lgkmcnt(0)
	v_lshrrev_b32_e32 v2, 16, v0
	v_mul_f16_sdwa v3, v5, v0 dst_sel:DWORD dst_unused:UNUSED_PAD src0_sel:WORD_1 src1_sel:DWORD
	v_fma_f16 v9, v5, v2, -v3
	v_mul_f16_sdwa v2, v5, v2 dst_sel:DWORD dst_unused:UNUSED_PAD src0_sel:WORD_1 src1_sel:DWORD
	v_fma_f16 v5, v5, v0, v2
	v_lshrrev_b32_e32 v0, 16, v1
	ds_read2_b32 v[2:3], v27 offset1:162
	v_mul_f16_sdwa v10, v6, v0 dst_sel:DWORD dst_unused:UNUSED_PAD src0_sel:WORD_1 src1_sel:DWORD
	v_fma_f16 v10, v6, v1, v10
	v_mul_f16_sdwa v1, v6, v1 dst_sel:DWORD dst_unused:UNUSED_PAD src0_sel:WORD_1 src1_sel:DWORD
	v_fma_f16 v6, v6, v0, -v1
	ds_read2_b32 v[0:1], v23 offset0:8 offset1:170
	s_waitcnt lgkmcnt(1)
	v_lshrrev_b32_e32 v11, 16, v3
	v_mul_f16_sdwa v12, v4, v3 dst_sel:DWORD dst_unused:UNUSED_PAD src0_sel:WORD_1 src1_sel:DWORD
	v_fma_f16 v12, v4, v11, -v12
	v_mul_f16_sdwa v11, v4, v11 dst_sel:DWORD dst_unused:UNUSED_PAD src0_sel:WORD_1 src1_sel:DWORD
	v_fma_f16 v3, v4, v3, v11
	s_waitcnt lgkmcnt(0)
	v_lshrrev_b32_e32 v4, 16, v0
	v_mul_f16_sdwa v11, v7, v0 dst_sel:DWORD dst_unused:UNUSED_PAD src0_sel:WORD_1 src1_sel:DWORD
	v_fma_f16 v11, v7, v4, -v11
	v_mul_f16_sdwa v4, v7, v4 dst_sel:DWORD dst_unused:UNUSED_PAD src0_sel:WORD_1 src1_sel:DWORD
	v_fma_f16 v0, v7, v0, v4
	v_lshrrev_b32_e32 v4, 16, v1
	v_mul_f16_sdwa v7, v33, v4 dst_sel:DWORD dst_unused:UNUSED_PAD src0_sel:WORD_1 src1_sel:DWORD
	v_fma_f16 v7, v33, v1, v7
	v_mul_f16_sdwa v1, v33, v1 dst_sel:DWORD dst_unused:UNUSED_PAD src0_sel:WORD_1 src1_sel:DWORD
	v_fma_f16 v1, v33, v4, -v1
	v_add_f16_e32 v4, v5, v0
	v_fma_f16 v4, v4, -0.5, v2
	v_lshrrev_b32_e32 v28, 16, v2
	v_add_f16_e32 v2, v2, v5
	v_add_f16_e32 v29, v28, v9
	v_add_f16_e32 v2, v2, v0
	v_sub_f16_e32 v0, v5, v0
	v_add_f16_e32 v5, v12, v6
	v_add_f16_e32 v29, v29, v11
	v_sub_f16_e32 v30, v9, v11
	v_add_f16_e32 v9, v9, v11
	v_add_f16_e32 v5, v5, v1
	;; [unrolled: 3-line block ×3, first 2 shown]
	v_fma_f16 v6, v6, -0.5, v3
	v_add_f16_e32 v3, v3, v10
	v_fma_f16 v1, v1, -0.5, v12
	v_add_f16_e32 v3, v3, v7
	v_sub_f16_e32 v7, v10, v7
	v_fma_f16 v12, v7, s12, v1
	v_fma_f16 v9, v9, -0.5, v28
	v_fma_f16 v10, v11, s13, v6
	v_mul_f16_e32 v28, 0xbaee, v12
	v_mul_f16_e32 v12, 0.5, v12
	v_fma_f16 v1, v7, s13, v1
	v_fma_f16 v28, v10, 0.5, v28
	v_fma_f16 v10, v10, s12, v12
	v_add_f16_e32 v12, v2, v3
	v_add_f16_e32 v31, v29, v5
	v_fma_f16 v6, v11, s12, v6
	v_mul_f16_e32 v7, 0xbaee, v1
	v_mul_f16_e32 v1, -0.5, v1
	v_pack_b32_f16 v12, v12, v31
	v_fma_f16 v31, v30, s13, v4
	v_fma_f16 v32, v0, s12, v9
	v_fma_f16 v4, v30, s12, v4
	v_fma_f16 v0, v0, s13, v9
	v_fma_f16 v7, v6, -0.5, v7
	v_fma_f16 v1, v6, s12, v1
	v_sub_f16_e32 v2, v2, v3
	v_sub_f16_e32 v3, v29, v5
	v_add_f16_e32 v5, v4, v7
	v_add_f16_e32 v6, v0, v1
	v_pack_b32_f16 v5, v5, v6
	v_pack_b32_f16 v2, v2, v3
	v_add_f16_e32 v33, v31, v28
	v_add_f16_e32 v34, v32, v10
	s_barrier
	ds_write2_b32 v35, v5, v2 offset0:108 offset1:162
	v_sub_f16_e32 v2, v31, v28
	v_sub_f16_e32 v3, v4, v7
	;; [unrolled: 1-line block ×4, first 2 shown]
	v_pack_b32_f16 v33, v33, v34
	v_pack_b32_f16 v1, v2, v4
	;; [unrolled: 1-line block ×3, first 2 shown]
	ds_write2_b32 v35, v12, v33 offset1:54
	ds_write2_b32 v36, v1, v0 offset0:88 offset1:142
	s_waitcnt lgkmcnt(0)
	s_barrier
	ds_read2_b32 v[0:1], v26 offset0:68 offset1:230
	ds_read2_b32 v[2:3], v23 offset0:8 offset1:170
	s_waitcnt lgkmcnt(1)
	v_lshrrev_b32_e32 v4, 16, v0
	v_mul_f16_sdwa v5, v15, v0 dst_sel:DWORD dst_unused:UNUSED_PAD src0_sel:WORD_1 src1_sel:DWORD
	v_fma_f16 v5, v15, v4, -v5
	v_mul_f16_sdwa v4, v15, v4 dst_sel:DWORD dst_unused:UNUSED_PAD src0_sel:WORD_1 src1_sel:DWORD
	v_fma_f16 v4, v15, v0, v4
	s_waitcnt lgkmcnt(0)
	v_lshrrev_b32_e32 v0, 16, v2
	v_mul_f16_sdwa v6, v16, v2 dst_sel:DWORD dst_unused:UNUSED_PAD src0_sel:WORD_1 src1_sel:DWORD
	v_fma_f16 v6, v16, v0, -v6
	v_mul_f16_sdwa v0, v16, v0 dst_sel:DWORD dst_unused:UNUSED_PAD src0_sel:WORD_1 src1_sel:DWORD
	v_fma_f16 v2, v16, v2, v0
	v_lshrrev_b32_e32 v0, 16, v1
	v_mul_f16_sdwa v7, v13, v0 dst_sel:DWORD dst_unused:UNUSED_PAD src0_sel:WORD_1 src1_sel:DWORD
	v_fma_f16 v7, v13, v1, v7
	v_mul_f16_sdwa v1, v13, v1 dst_sel:DWORD dst_unused:UNUSED_PAD src0_sel:WORD_1 src1_sel:DWORD
	v_fma_f16 v9, v13, v0, -v1
	ds_read2_b32 v[0:1], v27 offset1:162
	v_lshrrev_b32_e32 v10, 16, v3
	v_mul_f16_sdwa v11, v14, v10 dst_sel:DWORD dst_unused:UNUSED_PAD src0_sel:WORD_1 src1_sel:DWORD
	v_fma_f16 v11, v14, v3, v11
	v_mul_f16_sdwa v3, v14, v3 dst_sel:DWORD dst_unused:UNUSED_PAD src0_sel:WORD_1 src1_sel:DWORD
	v_fma_f16 v3, v14, v10, -v3
	v_add_f16_e32 v10, v4, v2
	s_waitcnt lgkmcnt(0)
	v_fma_f16 v10, v10, -0.5, v0
	v_sub_f16_e32 v12, v5, v6
	v_fma_f16 v13, v12, s13, v10
	v_fma_f16 v10, v12, s12, v10
	v_lshrrev_b32_e32 v12, 16, v0
	v_add_f16_e32 v14, v12, v5
	v_add_f16_e32 v5, v5, v6
	;; [unrolled: 1-line block ×3, first 2 shown]
	v_fma_f16 v5, v5, -0.5, v12
	v_add_f16_e32 v0, v0, v2
	v_sub_f16_e32 v2, v4, v2
	v_fma_f16 v4, v2, s12, v5
	v_fma_f16 v2, v2, s13, v5
	v_add_f16_e32 v5, v7, v11
	v_add_f16_e32 v14, v14, v6
	v_fma_f16 v5, v5, -0.5, v1
	v_lshrrev_b32_e32 v6, 16, v1
	v_sub_f16_e32 v12, v9, v3
	v_fma_f16 v15, v12, s13, v5
	v_fma_f16 v5, v12, s12, v5
	v_add_f16_e32 v12, v6, v9
	v_add_f16_e32 v1, v1, v7
	;; [unrolled: 1-line block ×4, first 2 shown]
	v_fma_f16 v3, v3, -0.5, v6
	v_add_f16_e32 v1, v1, v11
	v_sub_f16_e32 v6, v7, v11
	v_fma_f16 v7, v6, s12, v3
	v_pack_b32_f16 v0, v0, v14
	v_pack_b32_f16 v4, v13, v4
	;; [unrolled: 1-line block ×4, first 2 shown]
	v_fma_f16 v3, v6, s13, v3
	ds_write_b32 v27, v4 offset:1296
	ds_write_b32 v27, v2 offset:2592
	ds_write2_b32 v27, v0, v1 offset1:162
	v_pack_b32_f16 v0, v15, v7
	ds_write_b32 v27, v0 offset:1944
	v_pack_b32_f16 v0, v5, v3
	ds_write_b32 v27, v0 offset:3240
	s_waitcnt lgkmcnt(0)
	s_barrier
	ds_read2_b32 v[0:1], v27 offset1:162
	v_mad_u64_u32 v[2:3], s[0:1], s10, v8, 0
	s_mul_hi_u32 s10, s8, 0x510
	s_waitcnt lgkmcnt(0)
	v_lshrrev_b32_e32 v9, 16, v0
	v_mul_f16_sdwa v4, v25, v0 dst_sel:DWORD dst_unused:UNUSED_PAD src0_sel:WORD_1 src1_sel:DWORD
	v_fma_f16 v4, v25, v9, -v4
	v_cvt_f32_f16_e32 v4, v4
	v_cvt_f64_f32_e32 v[4:5], v4
	v_mad_u64_u32 v[6:7], s[0:1], s11, v8, v[3:4]
	v_mul_f64 v[4:5], v[4:5], s[2:3]
	s_mul_i32 s11, s8, 0x510
	v_mov_b32_e32 v3, v6
	v_mul_f16_sdwa v6, v25, v9 dst_sel:DWORD dst_unused:UNUSED_PAD src0_sel:WORD_1 src1_sel:DWORD
	v_fma_f16 v9, v25, v0, v6
	v_mad_u64_u32 v[6:7], s[0:1], s8, v24, 0
	v_lshlrev_b64 v[2:3], 2, v[2:3]
	v_and_or_b32 v0, v5, s7, v4
	v_cmp_ne_u32_e32 vcc, 0, v0
	v_mov_b32_e32 v0, v7
	v_mad_u64_u32 v[7:8], s[0:1], s9, v24, v[0:1]
	v_cvt_f32_f16_e32 v0, v9
	s_load_dwordx2 s[0:1], s[4:5], 0x38
	v_cndmask_b32_e64 v4, 0, 1, vcc
	v_lshrrev_b32_e32 v10, 8, v5
	v_cvt_f64_f32_e32 v[8:9], v0
	v_and_or_b32 v4, v10, s6, v4
	s_waitcnt lgkmcnt(0)
	v_mov_b32_e32 v10, s1
	v_add_co_u32_e32 v0, vcc, s0, v2
	v_addc_co_u32_e32 v10, vcc, v10, v3, vcc
	v_lshlrev_b64 v[2:3], 2, v[6:7]
	v_mul_f64 v[6:7], v[8:9], s[2:3]
	v_add_co_u32_e32 v8, vcc, v0, v2
	v_bfe_u32 v2, v5, 20, 11
	v_sub_u32_e32 v0, 0x3f1, v2
	v_or_b32_e32 v11, 0x1000, v4
	v_med3_i32 v0, v0, 0, 13
	v_addc_co_u32_e32 v9, vcc, v10, v3, vcc
	v_lshrrev_b32_e32 v3, v0, v11
	v_lshlrev_b32_e32 v10, v0, v3
	v_and_or_b32 v0, v7, s7, v6
	v_cmp_ne_u32_e32 vcc, 0, v0
	v_cndmask_b32_e64 v0, 0, 1, vcc
	v_lshrrev_b32_e32 v6, 8, v7
	v_and_or_b32 v6, v6, s6, v0
	v_bfe_u32 v0, v7, 20, 11
	v_sub_u32_e32 v12, 0x3f1, v0
	v_med3_i32 v12, v12, 0, 13
	v_or_b32_e32 v13, 0x1000, v6
	v_lshrrev_b32_e32 v14, v12, v13
	v_lshlrev_b32_e32 v12, v12, v14
	v_cmp_ne_u32_e32 vcc, v12, v13
	v_cndmask_b32_e64 v12, 0, 1, vcc
	v_add_u32_e32 v13, 0xfffffc10, v0
	v_or_b32_e32 v12, v14, v12
	v_lshl_or_b32 v0, v13, 12, v6
	v_cmp_gt_i32_e32 vcc, 1, v13
	v_cndmask_b32_e32 v0, v0, v12, vcc
	v_and_b32_e32 v12, 7, v0
	v_cmp_lt_i32_e32 vcc, 5, v12
	v_cmp_eq_u32_e64 s[0:1], 3, v12
	v_lshrrev_b32_e32 v0, 2, v0
	s_or_b64 vcc, s[0:1], vcc
	v_addc_co_u32_e32 v12, vcc, 0, v0, vcc
	v_mov_b32_e32 v0, 0x7c00
	v_cmp_gt_i32_e32 vcc, 31, v13
	v_cndmask_b32_e32 v12, v0, v12, vcc
	v_cmp_ne_u32_e32 vcc, 0, v6
	v_cndmask_b32_e64 v6, 0, 1, vcc
	s_movk_i32 s4, 0x40f
	v_lshl_or_b32 v6, v6, 9, v0
	v_cmp_eq_u32_e32 vcc, s4, v13
	v_cndmask_b32_e32 v6, v12, v6, vcc
	v_lshrrev_b32_e32 v7, 16, v7
	s_mov_b32 s5, 0x8000
	v_cmp_ne_u32_e32 vcc, v10, v11
	v_and_or_b32 v6, v7, s5, v6
	v_cndmask_b32_e64 v7, 0, 1, vcc
	v_or_b32_e32 v3, v3, v7
	v_add_u32_e32 v7, 0xfffffc10, v2
	v_lshl_or_b32 v2, v7, 12, v4
	v_cmp_gt_i32_e32 vcc, 1, v7
	v_cndmask_b32_e32 v2, v2, v3, vcc
	v_and_b32_e32 v3, 7, v2
	v_cmp_lt_i32_e32 vcc, 5, v3
	v_cmp_eq_u32_e64 s[0:1], 3, v3
	v_lshrrev_b32_e32 v2, 2, v2
	s_or_b64 vcc, s[0:1], vcc
	v_addc_co_u32_e32 v10, vcc, 0, v2, vcc
	v_cmp_gt_i32_e32 vcc, 31, v7
	ds_read2_b32 v[2:3], v26 offset0:68 offset1:230
	v_cndmask_b32_e32 v10, v0, v10, vcc
	v_cmp_ne_u32_e32 vcc, 0, v4
	v_cndmask_b32_e64 v4, 0, 1, vcc
	v_lshl_or_b32 v4, v4, 9, v0
	v_cmp_eq_u32_e32 vcc, s4, v7
	v_cndmask_b32_e32 v4, v10, v4, vcc
	v_lshrrev_b32_e32 v5, 16, v5
	v_and_or_b32 v7, v5, s5, v4
	v_and_b32_e32 v6, 0xffff, v6
	s_waitcnt lgkmcnt(0)
	v_lshrrev_b32_e32 v11, 16, v2
	v_mul_f16_sdwa v12, v22, v2 dst_sel:DWORD dst_unused:UNUSED_PAD src0_sel:WORD_1 src1_sel:DWORD
	v_lshl_or_b32 v6, v7, 16, v6
	v_fma_f16 v12, v22, v11, -v12
	global_store_dword v[8:9], v6, off
	v_mul_f16_sdwa v6, v22, v11 dst_sel:DWORD dst_unused:UNUSED_PAD src0_sel:WORD_1 src1_sel:DWORD
	v_cvt_f32_f16_e32 v12, v12
	v_fma_f16 v2, v22, v2, v6
	v_cvt_f32_f16_e32 v2, v2
	s_mul_i32 s0, s9, 0x510
	s_add_i32 s10, s10, s0
	v_cvt_f64_f32_e32 v[4:5], v12
	v_mov_b32_e32 v7, s10
	v_add_co_u32_e32 v6, vcc, s11, v8
	v_addc_co_u32_e32 v7, vcc, v9, v7, vcc
	v_cvt_f64_f32_e32 v[8:9], v2
	v_mul_f64 v[4:5], v[4:5], s[2:3]
	v_mul_f64 v[8:9], v[8:9], s[2:3]
	v_and_or_b32 v4, v5, s7, v4
	v_cmp_ne_u32_e32 vcc, 0, v4
	v_cndmask_b32_e64 v2, 0, 1, vcc
	v_and_or_b32 v8, v9, s7, v8
	v_cmp_ne_u32_e32 vcc, 0, v8
	v_cndmask_b32_e64 v8, 0, 1, vcc
	v_lshrrev_b32_e32 v13, 8, v9
	v_and_or_b32 v8, v13, s6, v8
	v_bfe_u32 v13, v9, 20, 11
	v_sub_u32_e32 v14, 0x3f1, v13
	v_med3_i32 v14, v14, 0, 13
	v_or_b32_e32 v15, 0x1000, v8
	v_lshrrev_b32_e32 v16, v14, v15
	v_lshlrev_b32_e32 v14, v14, v16
	v_cmp_ne_u32_e32 vcc, v14, v15
	v_cndmask_b32_e64 v14, 0, 1, vcc
	v_add_u32_e32 v13, 0xfffffc10, v13
	v_or_b32_e32 v14, v16, v14
	v_lshl_or_b32 v15, v13, 12, v8
	v_cmp_gt_i32_e32 vcc, 1, v13
	v_cndmask_b32_e32 v14, v15, v14, vcc
	v_and_b32_e32 v15, 7, v14
	v_cmp_lt_i32_e32 vcc, 5, v15
	v_cmp_eq_u32_e64 s[0:1], 3, v15
	v_lshrrev_b32_e32 v4, 8, v5
	v_lshrrev_b32_e32 v14, 2, v14
	s_or_b64 vcc, s[0:1], vcc
	v_and_or_b32 v2, v4, s6, v2
	v_bfe_u32 v4, v5, 20, 11
	v_addc_co_u32_e32 v14, vcc, 0, v14, vcc
	v_sub_u32_e32 v10, 0x3f1, v4
	v_cmp_gt_i32_e32 vcc, 31, v13
	v_med3_i32 v10, v10, 0, 13
	v_or_b32_e32 v11, 0x1000, v2
	v_cndmask_b32_e32 v14, v0, v14, vcc
	v_cmp_ne_u32_e32 vcc, 0, v8
	v_lshrrev_b32_e32 v12, v10, v11
	v_cndmask_b32_e64 v8, 0, 1, vcc
	v_lshlrev_b32_e32 v10, v10, v12
	v_lshl_or_b32 v8, v8, 9, v0
	v_cmp_eq_u32_e32 vcc, s4, v13
	v_cndmask_b32_e32 v8, v14, v8, vcc
	v_lshrrev_b32_e32 v9, 16, v9
	v_cmp_ne_u32_e32 vcc, v10, v11
	v_and_or_b32 v13, v9, s5, v8
	v_cndmask_b32_e64 v8, 0, 1, vcc
	v_add_u32_e32 v4, 0xfffffc10, v4
	v_or_b32_e32 v8, v12, v8
	v_lshl_or_b32 v9, v4, 12, v2
	v_cmp_gt_i32_e32 vcc, 1, v4
	v_cndmask_b32_e32 v8, v9, v8, vcc
	v_and_b32_e32 v9, 7, v8
	v_cmp_lt_i32_e32 vcc, 5, v9
	v_cmp_eq_u32_e64 s[0:1], 3, v9
	v_lshrrev_b32_e32 v8, 2, v8
	s_or_b64 vcc, s[0:1], vcc
	v_addc_co_u32_e32 v10, vcc, 0, v8, vcc
	ds_read2_b32 v[8:9], v23 offset0:8 offset1:170
	v_cmp_gt_i32_e32 vcc, 31, v4
	v_cndmask_b32_e32 v10, v0, v10, vcc
	v_cmp_ne_u32_e32 vcc, 0, v2
	v_cndmask_b32_e64 v2, 0, 1, vcc
	s_waitcnt lgkmcnt(0)
	v_lshrrev_b32_e32 v12, 16, v8
	v_mul_f16_sdwa v11, v21, v8 dst_sel:DWORD dst_unused:UNUSED_PAD src0_sel:WORD_1 src1_sel:DWORD
	v_fma_f16 v11, v21, v12, -v11
	v_cvt_f32_f16_e32 v11, v11
	v_lshl_or_b32 v2, v2, 9, v0
	v_cmp_eq_u32_e32 vcc, s4, v4
	v_cndmask_b32_e32 v2, v10, v2, vcc
	v_cvt_f64_f32_e32 v[10:11], v11
	v_lshrrev_b32_e32 v4, 16, v5
	v_and_or_b32 v2, v4, s5, v2
	v_and_b32_e32 v13, 0xffff, v13
	v_mul_f64 v[4:5], v[10:11], s[2:3]
	v_lshl_or_b32 v2, v2, 16, v13
	global_store_dword v[6:7], v2, off
	v_mov_b32_e32 v2, s10
	v_add_co_u32_e32 v6, vcc, s11, v6
	v_addc_co_u32_e32 v7, vcc, v7, v2, vcc
	v_and_or_b32 v2, v5, s7, v4
	v_lshrrev_b32_e32 v4, 16, v1
	v_mul_f16_sdwa v10, v20, v4 dst_sel:DWORD dst_unused:UNUSED_PAD src0_sel:WORD_1 src1_sel:DWORD
	v_fma_f16 v10, v20, v1, v10
	v_mul_f16_sdwa v12, v21, v12 dst_sel:DWORD dst_unused:UNUSED_PAD src0_sel:WORD_1 src1_sel:DWORD
	v_cvt_f32_f16_e32 v10, v10
	v_cmp_ne_u32_e32 vcc, 0, v2
	v_fma_f16 v8, v21, v8, v12
	v_cndmask_b32_e64 v2, 0, 1, vcc
	v_lshrrev_b32_e32 v13, 8, v5
	v_bfe_u32 v14, v5, 20, 11
	v_cvt_f32_f16_e32 v8, v8
	v_and_or_b32 v2, v13, s6, v2
	v_sub_u32_e32 v13, 0x3f1, v14
	v_med3_i32 v13, v13, 0, 13
	v_or_b32_e32 v15, 0x1000, v2
	v_cvt_f64_f32_e32 v[10:11], v10
	v_lshrrev_b32_e32 v16, v13, v15
	v_lshlrev_b32_e32 v21, v13, v16
	v_cvt_f64_f32_e32 v[12:13], v8
	v_mul_f64 v[10:11], v[10:11], s[2:3]
	v_add_u32_e32 v14, 0xfffffc10, v14
	v_lshrrev_b32_e32 v5, 16, v5
	v_mul_f64 v[12:13], v[12:13], s[2:3]
	v_mul_f16_sdwa v1, v20, v1 dst_sel:DWORD dst_unused:UNUSED_PAD src0_sel:WORD_1 src1_sel:DWORD
	v_fma_f16 v1, v20, v4, -v1
	v_cvt_f32_f16_e32 v1, v1
	v_and_or_b32 v10, v11, s7, v10
	v_cmp_ne_u32_e32 vcc, 0, v10
	v_cndmask_b32_e64 v8, 0, 1, vcc
	v_and_or_b32 v12, v13, s7, v12
	v_cmp_ne_u32_e32 vcc, 0, v12
	v_cndmask_b32_e64 v12, 0, 1, vcc
	v_lshrrev_b32_e32 v25, 8, v13
	v_and_or_b32 v12, v25, s6, v12
	v_bfe_u32 v25, v13, 20, 11
	v_sub_u32_e32 v26, 0x3f1, v25
	v_med3_i32 v26, v26, 0, 13
	v_or_b32_e32 v27, 0x1000, v12
	v_lshrrev_b32_e32 v28, v26, v27
	v_lshlrev_b32_e32 v26, v26, v28
	v_cmp_ne_u32_e32 vcc, v26, v27
	v_cndmask_b32_e64 v26, 0, 1, vcc
	v_add_u32_e32 v25, 0xfffffc10, v25
	v_or_b32_e32 v26, v28, v26
	v_lshl_or_b32 v27, v25, 12, v12
	v_cmp_gt_i32_e32 vcc, 1, v25
	v_cndmask_b32_e32 v26, v27, v26, vcc
	v_and_b32_e32 v27, 7, v26
	v_cmp_lt_i32_e32 vcc, 5, v27
	v_cmp_eq_u32_e64 s[0:1], 3, v27
	v_lshrrev_b32_e32 v26, 2, v26
	s_or_b64 vcc, s[0:1], vcc
	v_addc_co_u32_e32 v26, vcc, 0, v26, vcc
	v_cmp_gt_i32_e32 vcc, 31, v25
	v_cndmask_b32_e32 v26, v0, v26, vcc
	v_cmp_ne_u32_e32 vcc, 0, v12
	v_cndmask_b32_e64 v12, 0, 1, vcc
	v_lshl_or_b32 v12, v12, 9, v0
	v_cmp_eq_u32_e32 vcc, s4, v25
	v_cndmask_b32_e32 v12, v26, v12, vcc
	v_lshrrev_b32_e32 v13, 16, v13
	v_cmp_ne_u32_e32 vcc, v21, v15
	v_and_or_b32 v12, v13, s5, v12
	v_cndmask_b32_e64 v13, 0, 1, vcc
	v_or_b32_e32 v13, v16, v13
	v_lshl_or_b32 v15, v14, 12, v2
	v_cmp_gt_i32_e32 vcc, 1, v14
	v_cndmask_b32_e32 v13, v15, v13, vcc
	v_and_b32_e32 v15, 7, v13
	v_cmp_lt_i32_e32 vcc, 5, v15
	v_cmp_eq_u32_e64 s[0:1], 3, v15
	v_lshrrev_b32_e32 v13, 2, v13
	s_or_b64 vcc, s[0:1], vcc
	v_addc_co_u32_e32 v13, vcc, 0, v13, vcc
	v_lshrrev_b32_e32 v10, 8, v11
	v_cmp_gt_i32_e32 vcc, 31, v14
	v_and_or_b32 v8, v10, s6, v8
	v_bfe_u32 v10, v11, 20, 11
	v_cndmask_b32_e32 v13, v0, v13, vcc
	v_cmp_ne_u32_e32 vcc, 0, v2
	v_sub_u32_e32 v22, 0x3f1, v10
	v_cndmask_b32_e64 v2, 0, 1, vcc
	v_med3_i32 v22, v22, 0, 13
	v_or_b32_e32 v23, 0x1000, v8
	v_lshl_or_b32 v2, v2, 9, v0
	v_cmp_eq_u32_e32 vcc, s4, v14
	v_lshrrev_b32_e32 v24, v22, v23
	v_cndmask_b32_e32 v2, v13, v2, vcc
	v_lshlrev_b32_e32 v22, v22, v24
	v_and_or_b32 v2, v5, s5, v2
	v_and_b32_e32 v5, 0xffff, v12
	v_lshl_or_b32 v2, v2, 16, v5
	v_cmp_ne_u32_e32 vcc, v22, v23
	global_store_dword v[6:7], v2, off
	v_cndmask_b32_e64 v2, 0, 1, vcc
	v_add_u32_e32 v5, 0xfffffc10, v10
	v_or_b32_e32 v2, v24, v2
	v_lshl_or_b32 v10, v5, 12, v8
	v_cmp_gt_i32_e32 vcc, 1, v5
	v_cndmask_b32_e32 v2, v10, v2, vcc
	v_and_b32_e32 v10, 7, v2
	v_lshrrev_b32_e32 v4, 2, v2
	v_cvt_f64_f32_e32 v[1:2], v1
	v_cmp_lt_i32_e32 vcc, 5, v10
	v_cmp_eq_u32_e64 s[0:1], 3, v10
	s_or_b64 vcc, s[0:1], vcc
	v_mul_f64 v[1:2], v[1:2], s[2:3]
	v_addc_co_u32_e32 v4, vcc, 0, v4, vcc
	v_cmp_gt_i32_e32 vcc, 31, v5
	v_cndmask_b32_e32 v4, v0, v4, vcc
	v_cmp_ne_u32_e32 vcc, 0, v8
	v_cndmask_b32_e64 v8, 0, 1, vcc
	v_lshl_or_b32 v8, v8, 9, v0
	v_cmp_eq_u32_e32 vcc, s4, v5
	v_and_or_b32 v1, v2, s7, v1
	v_cndmask_b32_e32 v4, v4, v8, vcc
	v_lshrrev_b32_e32 v5, 16, v11
	v_cmp_ne_u32_e32 vcc, 0, v1
	v_and_or_b32 v8, v5, s5, v4
	v_cndmask_b32_e64 v1, 0, 1, vcc
	v_lshrrev_b32_e32 v4, 8, v2
	v_bfe_u32 v5, v2, 20, 11
	v_and_or_b32 v1, v4, s6, v1
	v_sub_u32_e32 v10, 0x3f1, v5
	v_or_b32_e32 v4, 0x1000, v1
	v_med3_i32 v10, v10, 0, 13
	v_lshrrev_b32_e32 v11, v10, v4
	v_lshlrev_b32_e32 v10, v10, v11
	v_cmp_ne_u32_e32 vcc, v10, v4
	v_cndmask_b32_e64 v4, 0, 1, vcc
	v_add_u32_e32 v5, 0xfffffc10, v5
	v_or_b32_e32 v4, v11, v4
	v_lshl_or_b32 v10, v5, 12, v1
	v_cmp_gt_i32_e32 vcc, 1, v5
	v_cndmask_b32_e32 v4, v10, v4, vcc
	v_and_b32_e32 v10, 7, v4
	v_cmp_lt_i32_e32 vcc, 5, v10
	v_cmp_eq_u32_e64 s[0:1], 3, v10
	v_lshrrev_b32_e32 v10, 16, v3
	v_lshrrev_b32_e32 v4, 2, v4
	s_or_b64 vcc, s[0:1], vcc
	v_mul_f16_sdwa v11, v19, v10 dst_sel:DWORD dst_unused:UNUSED_PAD src0_sel:WORD_1 src1_sel:DWORD
	v_addc_co_u32_e32 v4, vcc, 0, v4, vcc
	v_fma_f16 v11, v19, v3, v11
	v_cmp_gt_i32_e32 vcc, 31, v5
	v_cvt_f32_f16_e32 v11, v11
	v_cndmask_b32_e32 v4, v0, v4, vcc
	v_cmp_ne_u32_e32 vcc, 0, v1
	v_cndmask_b32_e64 v1, 0, 1, vcc
	v_lshl_or_b32 v1, v1, 9, v0
	v_cmp_eq_u32_e32 vcc, s4, v5
	v_cndmask_b32_e32 v1, v4, v1, vcc
	v_cvt_f64_f32_e32 v[4:5], v11
	v_lshrrev_b32_e32 v2, 16, v2
	v_and_or_b32 v11, v2, s5, v1
	v_and_b32_e32 v8, 0xffff, v8
	v_mul_f64 v[1:2], v[4:5], s[2:3]
	v_mad_u64_u32 v[4:5], s[0:1], s8, v18, v[6:7]
	s_mul_i32 s0, s9, 0xfffff868
	s_sub_i32 s0, s0, s8
	v_lshl_or_b32 v6, v11, 16, v8
	v_add_u32_e32 v5, s0, v5
	global_store_dword v[4:5], v6, off
	v_and_or_b32 v1, v2, s7, v1
	v_cmp_ne_u32_e32 vcc, 0, v1
	v_cndmask_b32_e64 v1, 0, 1, vcc
	v_lshrrev_b32_e32 v6, 8, v2
	v_bfe_u32 v7, v2, 20, 11
	v_and_or_b32 v1, v6, s6, v1
	v_sub_u32_e32 v8, 0x3f1, v7
	v_or_b32_e32 v6, 0x1000, v1
	v_med3_i32 v8, v8, 0, 13
	v_lshrrev_b32_e32 v11, v8, v6
	v_lshlrev_b32_e32 v8, v8, v11
	v_mul_f16_sdwa v3, v19, v3 dst_sel:DWORD dst_unused:UNUSED_PAD src0_sel:WORD_1 src1_sel:DWORD
	v_cmp_ne_u32_e32 vcc, v8, v6
	v_fma_f16 v3, v19, v10, -v3
	v_cndmask_b32_e64 v6, 0, 1, vcc
	v_add_u32_e32 v8, 0xfffffc10, v7
	v_cvt_f32_f16_e32 v3, v3
	v_or_b32_e32 v6, v11, v6
	v_lshl_or_b32 v7, v8, 12, v1
	v_cmp_gt_i32_e32 vcc, 1, v8
	v_cndmask_b32_e32 v6, v7, v6, vcc
	v_and_b32_e32 v7, 7, v6
	v_cmp_lt_i32_e32 vcc, 5, v7
	v_cmp_eq_u32_e64 s[0:1], 3, v7
	v_lshrrev_b32_e32 v10, 2, v6
	v_cvt_f64_f32_e32 v[6:7], v3
	s_or_b64 vcc, s[0:1], vcc
	v_addc_co_u32_e32 v3, vcc, 0, v10, vcc
	v_mul_f64 v[6:7], v[6:7], s[2:3]
	v_cmp_gt_i32_e32 vcc, 31, v8
	v_cndmask_b32_e32 v3, v0, v3, vcc
	v_cmp_ne_u32_e32 vcc, 0, v1
	v_cndmask_b32_e64 v1, 0, 1, vcc
	v_lshl_or_b32 v1, v1, 9, v0
	v_cmp_eq_u32_e32 vcc, s4, v8
	v_cndmask_b32_e32 v1, v3, v1, vcc
	v_lshrrev_b32_e32 v2, 16, v2
	v_and_or_b32 v3, v2, s5, v1
	v_and_or_b32 v1, v7, s7, v6
	v_cmp_ne_u32_e32 vcc, 0, v1
	v_cndmask_b32_e64 v1, 0, 1, vcc
	v_lshrrev_b32_e32 v2, 8, v7
	v_bfe_u32 v6, v7, 20, 11
	v_and_or_b32 v1, v2, s6, v1
	v_sub_u32_e32 v8, 0x3f1, v6
	v_or_b32_e32 v2, 0x1000, v1
	v_med3_i32 v8, v8, 0, 13
	v_lshrrev_b32_e32 v10, v8, v2
	v_lshlrev_b32_e32 v8, v8, v10
	v_cmp_ne_u32_e32 vcc, v8, v2
	v_cndmask_b32_e64 v2, 0, 1, vcc
	v_add_u32_e32 v6, 0xfffffc10, v6
	v_or_b32_e32 v2, v10, v2
	v_lshl_or_b32 v8, v6, 12, v1
	v_cmp_gt_i32_e32 vcc, 1, v6
	v_cndmask_b32_e32 v2, v8, v2, vcc
	v_and_b32_e32 v8, 7, v2
	v_cmp_lt_i32_e32 vcc, 5, v8
	v_cmp_eq_u32_e64 s[0:1], 3, v8
	v_lshrrev_b32_e32 v8, 16, v9
	v_lshrrev_b32_e32 v2, 2, v2
	s_or_b64 vcc, s[0:1], vcc
	v_mul_f16_sdwa v10, v17, v8 dst_sel:DWORD dst_unused:UNUSED_PAD src0_sel:WORD_1 src1_sel:DWORD
	v_addc_co_u32_e32 v2, vcc, 0, v2, vcc
	v_fma_f16 v10, v17, v9, v10
	v_cmp_gt_i32_e32 vcc, 31, v6
	v_cvt_f32_f16_e32 v10, v10
	v_cndmask_b32_e32 v2, v0, v2, vcc
	v_cmp_ne_u32_e32 vcc, 0, v1
	v_cndmask_b32_e64 v1, 0, 1, vcc
	v_lshl_or_b32 v1, v1, 9, v0
	v_cmp_eq_u32_e32 vcc, s4, v6
	v_cndmask_b32_e32 v6, v2, v1, vcc
	v_cvt_f64_f32_e32 v[1:2], v10
	v_lshrrev_b32_e32 v7, 16, v7
	v_and_or_b32 v6, v7, s5, v6
	v_and_b32_e32 v3, 0xffff, v3
	v_mul_f64 v[1:2], v[1:2], s[2:3]
	v_lshl_or_b32 v6, v6, 16, v3
	v_mov_b32_e32 v7, s10
	v_add_co_u32_e32 v3, vcc, s11, v4
	v_addc_co_u32_e32 v4, vcc, v5, v7, vcc
	global_store_dword v[3:4], v6, off
	v_and_or_b32 v1, v2, s7, v1
	v_cmp_ne_u32_e32 vcc, 0, v1
	v_cndmask_b32_e64 v1, 0, 1, vcc
	v_lshrrev_b32_e32 v5, 8, v2
	v_bfe_u32 v6, v2, 20, 11
	v_and_or_b32 v1, v5, s6, v1
	v_sub_u32_e32 v7, 0x3f1, v6
	v_or_b32_e32 v5, 0x1000, v1
	v_med3_i32 v7, v7, 0, 13
	v_lshrrev_b32_e32 v10, v7, v5
	v_lshlrev_b32_e32 v7, v7, v10
	v_mul_f16_sdwa v9, v17, v9 dst_sel:DWORD dst_unused:UNUSED_PAD src0_sel:WORD_1 src1_sel:DWORD
	v_cmp_ne_u32_e32 vcc, v7, v5
	v_fma_f16 v8, v17, v8, -v9
	v_cndmask_b32_e64 v5, 0, 1, vcc
	v_add_u32_e32 v7, 0xfffffc10, v6
	v_cvt_f32_f16_e32 v8, v8
	v_or_b32_e32 v5, v10, v5
	v_lshl_or_b32 v6, v7, 12, v1
	v_cmp_gt_i32_e32 vcc, 1, v7
	v_cndmask_b32_e32 v5, v6, v5, vcc
	v_and_b32_e32 v6, 7, v5
	v_cmp_lt_i32_e32 vcc, 5, v6
	v_cmp_eq_u32_e64 s[0:1], 3, v6
	v_lshrrev_b32_e32 v9, 2, v5
	v_cvt_f64_f32_e32 v[5:6], v8
	s_or_b64 vcc, s[0:1], vcc
	v_addc_co_u32_e32 v8, vcc, 0, v9, vcc
	v_mul_f64 v[5:6], v[5:6], s[2:3]
	v_cmp_gt_i32_e32 vcc, 31, v7
	v_cndmask_b32_e32 v8, v0, v8, vcc
	v_cmp_ne_u32_e32 vcc, 0, v1
	v_cndmask_b32_e64 v1, 0, 1, vcc
	v_lshl_or_b32 v1, v1, 9, v0
	v_cmp_eq_u32_e32 vcc, s4, v7
	v_cndmask_b32_e32 v1, v8, v1, vcc
	v_lshrrev_b32_e32 v2, 16, v2
	v_and_or_b32 v1, v2, s5, v1
	v_and_or_b32 v2, v6, s7, v5
	v_cmp_ne_u32_e32 vcc, 0, v2
	v_cndmask_b32_e64 v2, 0, 1, vcc
	v_lshrrev_b32_e32 v5, 8, v6
	v_bfe_u32 v7, v6, 20, 11
	v_and_or_b32 v2, v5, s6, v2
	v_sub_u32_e32 v8, 0x3f1, v7
	v_or_b32_e32 v5, 0x1000, v2
	v_med3_i32 v8, v8, 0, 13
	v_lshrrev_b32_e32 v9, v8, v5
	v_lshlrev_b32_e32 v8, v8, v9
	v_cmp_ne_u32_e32 vcc, v8, v5
	v_cndmask_b32_e64 v5, 0, 1, vcc
	v_add_u32_e32 v7, 0xfffffc10, v7
	v_or_b32_e32 v5, v9, v5
	v_lshl_or_b32 v8, v7, 12, v2
	v_cmp_gt_i32_e32 vcc, 1, v7
	v_cndmask_b32_e32 v5, v8, v5, vcc
	v_and_b32_e32 v8, 7, v5
	v_cmp_lt_i32_e32 vcc, 5, v8
	v_cmp_eq_u32_e64 s[0:1], 3, v8
	v_lshrrev_b32_e32 v5, 2, v5
	s_or_b64 vcc, s[0:1], vcc
	v_addc_co_u32_e32 v5, vcc, 0, v5, vcc
	v_cmp_gt_i32_e32 vcc, 31, v7
	v_cndmask_b32_e32 v5, v0, v5, vcc
	v_cmp_ne_u32_e32 vcc, 0, v2
	v_cndmask_b32_e64 v2, 0, 1, vcc
	v_lshl_or_b32 v0, v2, 9, v0
	v_cmp_eq_u32_e32 vcc, s4, v7
	v_cndmask_b32_e32 v0, v5, v0, vcc
	v_lshrrev_b32_e32 v2, 16, v6
	v_and_or_b32 v0, v2, s5, v0
	v_and_b32_e32 v1, 0xffff, v1
	v_lshl_or_b32 v2, v0, 16, v1
	v_mov_b32_e32 v1, s10
	v_add_co_u32_e32 v0, vcc, s11, v3
	v_addc_co_u32_e32 v1, vcc, v4, v1, vcc
	global_store_dword v[0:1], v2, off
.LBB0_2:
	s_endpgm
	.section	.rodata,"a",@progbits
	.p2align	6, 0x0
	.amdhsa_kernel bluestein_single_fwd_len972_dim1_half_op_CI_CI
		.amdhsa_group_segment_fixed_size 3888
		.amdhsa_private_segment_fixed_size 0
		.amdhsa_kernarg_size 104
		.amdhsa_user_sgpr_count 6
		.amdhsa_user_sgpr_private_segment_buffer 1
		.amdhsa_user_sgpr_dispatch_ptr 0
		.amdhsa_user_sgpr_queue_ptr 0
		.amdhsa_user_sgpr_kernarg_segment_ptr 1
		.amdhsa_user_sgpr_dispatch_id 0
		.amdhsa_user_sgpr_flat_scratch_init 0
		.amdhsa_user_sgpr_private_segment_size 0
		.amdhsa_uses_dynamic_stack 0
		.amdhsa_system_sgpr_private_segment_wavefront_offset 0
		.amdhsa_system_sgpr_workgroup_id_x 1
		.amdhsa_system_sgpr_workgroup_id_y 0
		.amdhsa_system_sgpr_workgroup_id_z 0
		.amdhsa_system_sgpr_workgroup_info 0
		.amdhsa_system_vgpr_workitem_id 0
		.amdhsa_next_free_vgpr 52
		.amdhsa_next_free_sgpr 20
		.amdhsa_reserve_vcc 1
		.amdhsa_reserve_flat_scratch 0
		.amdhsa_float_round_mode_32 0
		.amdhsa_float_round_mode_16_64 0
		.amdhsa_float_denorm_mode_32 3
		.amdhsa_float_denorm_mode_16_64 3
		.amdhsa_dx10_clamp 1
		.amdhsa_ieee_mode 1
		.amdhsa_fp16_overflow 0
		.amdhsa_exception_fp_ieee_invalid_op 0
		.amdhsa_exception_fp_denorm_src 0
		.amdhsa_exception_fp_ieee_div_zero 0
		.amdhsa_exception_fp_ieee_overflow 0
		.amdhsa_exception_fp_ieee_underflow 0
		.amdhsa_exception_fp_ieee_inexact 0
		.amdhsa_exception_int_div_zero 0
	.end_amdhsa_kernel
	.text
.Lfunc_end0:
	.size	bluestein_single_fwd_len972_dim1_half_op_CI_CI, .Lfunc_end0-bluestein_single_fwd_len972_dim1_half_op_CI_CI
                                        ; -- End function
	.section	.AMDGPU.csdata,"",@progbits
; Kernel info:
; codeLenInByte = 9104
; NumSgprs: 24
; NumVgprs: 52
; ScratchSize: 0
; MemoryBound: 0
; FloatMode: 240
; IeeeMode: 1
; LDSByteSize: 3888 bytes/workgroup (compile time only)
; SGPRBlocks: 2
; VGPRBlocks: 12
; NumSGPRsForWavesPerEU: 24
; NumVGPRsForWavesPerEU: 52
; Occupancy: 4
; WaveLimiterHint : 1
; COMPUTE_PGM_RSRC2:SCRATCH_EN: 0
; COMPUTE_PGM_RSRC2:USER_SGPR: 6
; COMPUTE_PGM_RSRC2:TRAP_HANDLER: 0
; COMPUTE_PGM_RSRC2:TGID_X_EN: 1
; COMPUTE_PGM_RSRC2:TGID_Y_EN: 0
; COMPUTE_PGM_RSRC2:TGID_Z_EN: 0
; COMPUTE_PGM_RSRC2:TIDIG_COMP_CNT: 0
	.type	__hip_cuid_2fc1b8b83b2af5da,@object ; @__hip_cuid_2fc1b8b83b2af5da
	.section	.bss,"aw",@nobits
	.globl	__hip_cuid_2fc1b8b83b2af5da
__hip_cuid_2fc1b8b83b2af5da:
	.byte	0                               ; 0x0
	.size	__hip_cuid_2fc1b8b83b2af5da, 1

	.ident	"AMD clang version 19.0.0git (https://github.com/RadeonOpenCompute/llvm-project roc-6.4.0 25133 c7fe45cf4b819c5991fe208aaa96edf142730f1d)"
	.section	".note.GNU-stack","",@progbits
	.addrsig
	.addrsig_sym __hip_cuid_2fc1b8b83b2af5da
	.amdgpu_metadata
---
amdhsa.kernels:
  - .args:
      - .actual_access:  read_only
        .address_space:  global
        .offset:         0
        .size:           8
        .value_kind:     global_buffer
      - .actual_access:  read_only
        .address_space:  global
        .offset:         8
        .size:           8
        .value_kind:     global_buffer
      - .actual_access:  read_only
        .address_space:  global
        .offset:         16
        .size:           8
        .value_kind:     global_buffer
      - .actual_access:  read_only
        .address_space:  global
        .offset:         24
        .size:           8
        .value_kind:     global_buffer
      - .actual_access:  read_only
        .address_space:  global
        .offset:         32
        .size:           8
        .value_kind:     global_buffer
      - .offset:         40
        .size:           8
        .value_kind:     by_value
      - .address_space:  global
        .offset:         48
        .size:           8
        .value_kind:     global_buffer
      - .address_space:  global
        .offset:         56
        .size:           8
        .value_kind:     global_buffer
      - .address_space:  global
        .offset:         64
        .size:           8
        .value_kind:     global_buffer
      - .address_space:  global
        .offset:         72
        .size:           8
        .value_kind:     global_buffer
      - .offset:         80
        .size:           4
        .value_kind:     by_value
      - .address_space:  global
        .offset:         88
        .size:           8
        .value_kind:     global_buffer
      - .address_space:  global
        .offset:         96
        .size:           8
        .value_kind:     global_buffer
    .group_segment_fixed_size: 3888
    .kernarg_segment_align: 8
    .kernarg_segment_size: 104
    .language:       OpenCL C
    .language_version:
      - 2
      - 0
    .max_flat_workgroup_size: 162
    .name:           bluestein_single_fwd_len972_dim1_half_op_CI_CI
    .private_segment_fixed_size: 0
    .sgpr_count:     24
    .sgpr_spill_count: 0
    .symbol:         bluestein_single_fwd_len972_dim1_half_op_CI_CI.kd
    .uniform_work_group_size: 1
    .uses_dynamic_stack: false
    .vgpr_count:     52
    .vgpr_spill_count: 0
    .wavefront_size: 64
amdhsa.target:   amdgcn-amd-amdhsa--gfx906
amdhsa.version:
  - 1
  - 2
...

	.end_amdgpu_metadata
